;; amdgpu-corpus repo=ROCm/rocFFT kind=compiled arch=gfx1030 opt=O3
	.text
	.amdgcn_target "amdgcn-amd-amdhsa--gfx1030"
	.amdhsa_code_object_version 6
	.protected	fft_rtc_back_len1872_factors_13_3_4_6_2_wgs_156_tpt_156_halfLds_half_ip_CI_sbrr_dirReg ; -- Begin function fft_rtc_back_len1872_factors_13_3_4_6_2_wgs_156_tpt_156_halfLds_half_ip_CI_sbrr_dirReg
	.globl	fft_rtc_back_len1872_factors_13_3_4_6_2_wgs_156_tpt_156_halfLds_half_ip_CI_sbrr_dirReg
	.p2align	8
	.type	fft_rtc_back_len1872_factors_13_3_4_6_2_wgs_156_tpt_156_halfLds_half_ip_CI_sbrr_dirReg,@function
fft_rtc_back_len1872_factors_13_3_4_6_2_wgs_156_tpt_156_halfLds_half_ip_CI_sbrr_dirReg: ; @fft_rtc_back_len1872_factors_13_3_4_6_2_wgs_156_tpt_156_halfLds_half_ip_CI_sbrr_dirReg
; %bb.0:
	s_clause 0x2
	s_load_dwordx2 s[14:15], s[4:5], 0x18
	s_load_dwordx4 s[8:11], s[4:5], 0x0
	s_load_dwordx2 s[12:13], s[4:5], 0x50
	v_mul_u32_u24_e32 v1, 0x1a5, v0
	v_mov_b32_e32 v3, 0
	v_add_nc_u32_sdwa v5, s6, v1 dst_sel:DWORD dst_unused:UNUSED_PAD src0_sel:DWORD src1_sel:WORD_1
	v_mov_b32_e32 v1, 0
	v_mov_b32_e32 v6, v3
	v_mov_b32_e32 v2, 0
	s_waitcnt lgkmcnt(0)
	s_load_dwordx2 s[2:3], s[14:15], 0x0
	v_cmp_lt_u64_e64 s0, s[10:11], 2
	s_and_b32 vcc_lo, exec_lo, s0
	s_cbranch_vccnz .LBB0_8
; %bb.1:
	s_load_dwordx2 s[0:1], s[4:5], 0x10
	v_mov_b32_e32 v1, 0
	s_add_u32 s6, s14, 8
	v_mov_b32_e32 v2, 0
	s_addc_u32 s7, s15, 0
	s_mov_b64 s[18:19], 1
	s_waitcnt lgkmcnt(0)
	s_add_u32 s16, s0, 8
	s_addc_u32 s17, s1, 0
.LBB0_2:                                ; =>This Inner Loop Header: Depth=1
	s_load_dwordx2 s[20:21], s[16:17], 0x0
                                        ; implicit-def: $vgpr7_vgpr8
	s_mov_b32 s0, exec_lo
	s_waitcnt lgkmcnt(0)
	v_or_b32_e32 v4, s21, v6
	v_cmpx_ne_u64_e32 0, v[3:4]
	s_xor_b32 s1, exec_lo, s0
	s_cbranch_execz .LBB0_4
; %bb.3:                                ;   in Loop: Header=BB0_2 Depth=1
	v_cvt_f32_u32_e32 v4, s20
	v_cvt_f32_u32_e32 v7, s21
	s_sub_u32 s0, 0, s20
	s_subb_u32 s22, 0, s21
	v_fmac_f32_e32 v4, 0x4f800000, v7
	v_rcp_f32_e32 v4, v4
	v_mul_f32_e32 v4, 0x5f7ffffc, v4
	v_mul_f32_e32 v7, 0x2f800000, v4
	v_trunc_f32_e32 v7, v7
	v_fmac_f32_e32 v4, 0xcf800000, v7
	v_cvt_u32_f32_e32 v7, v7
	v_cvt_u32_f32_e32 v4, v4
	v_mul_lo_u32 v8, s0, v7
	v_mul_hi_u32 v9, s0, v4
	v_mul_lo_u32 v10, s22, v4
	v_add_nc_u32_e32 v8, v9, v8
	v_mul_lo_u32 v9, s0, v4
	v_add_nc_u32_e32 v8, v8, v10
	v_mul_hi_u32 v10, v4, v9
	v_mul_lo_u32 v11, v4, v8
	v_mul_hi_u32 v12, v4, v8
	v_mul_hi_u32 v13, v7, v9
	v_mul_lo_u32 v9, v7, v9
	v_mul_hi_u32 v14, v7, v8
	v_mul_lo_u32 v8, v7, v8
	v_add_co_u32 v10, vcc_lo, v10, v11
	v_add_co_ci_u32_e32 v11, vcc_lo, 0, v12, vcc_lo
	v_add_co_u32 v9, vcc_lo, v10, v9
	v_add_co_ci_u32_e32 v9, vcc_lo, v11, v13, vcc_lo
	v_add_co_ci_u32_e32 v10, vcc_lo, 0, v14, vcc_lo
	v_add_co_u32 v8, vcc_lo, v9, v8
	v_add_co_ci_u32_e32 v9, vcc_lo, 0, v10, vcc_lo
	v_add_co_u32 v4, vcc_lo, v4, v8
	v_add_co_ci_u32_e32 v7, vcc_lo, v7, v9, vcc_lo
	v_mul_hi_u32 v8, s0, v4
	v_mul_lo_u32 v10, s22, v4
	v_mul_lo_u32 v9, s0, v7
	v_add_nc_u32_e32 v8, v8, v9
	v_mul_lo_u32 v9, s0, v4
	v_add_nc_u32_e32 v8, v8, v10
	v_mul_hi_u32 v10, v4, v9
	v_mul_lo_u32 v11, v4, v8
	v_mul_hi_u32 v12, v4, v8
	v_mul_hi_u32 v13, v7, v9
	v_mul_lo_u32 v9, v7, v9
	v_mul_hi_u32 v14, v7, v8
	v_mul_lo_u32 v8, v7, v8
	v_add_co_u32 v10, vcc_lo, v10, v11
	v_add_co_ci_u32_e32 v11, vcc_lo, 0, v12, vcc_lo
	v_add_co_u32 v9, vcc_lo, v10, v9
	v_add_co_ci_u32_e32 v9, vcc_lo, v11, v13, vcc_lo
	v_add_co_ci_u32_e32 v10, vcc_lo, 0, v14, vcc_lo
	v_add_co_u32 v8, vcc_lo, v9, v8
	v_add_co_ci_u32_e32 v9, vcc_lo, 0, v10, vcc_lo
	v_add_co_u32 v4, vcc_lo, v4, v8
	v_add_co_ci_u32_e32 v11, vcc_lo, v7, v9, vcc_lo
	v_mul_hi_u32 v13, v5, v4
	v_mad_u64_u32 v[9:10], null, v6, v4, 0
	v_mad_u64_u32 v[7:8], null, v5, v11, 0
	;; [unrolled: 1-line block ×3, first 2 shown]
	v_add_co_u32 v4, vcc_lo, v13, v7
	v_add_co_ci_u32_e32 v7, vcc_lo, 0, v8, vcc_lo
	v_add_co_u32 v4, vcc_lo, v4, v9
	v_add_co_ci_u32_e32 v4, vcc_lo, v7, v10, vcc_lo
	v_add_co_ci_u32_e32 v7, vcc_lo, 0, v12, vcc_lo
	v_add_co_u32 v4, vcc_lo, v4, v11
	v_add_co_ci_u32_e32 v9, vcc_lo, 0, v7, vcc_lo
	v_mul_lo_u32 v10, s21, v4
	v_mad_u64_u32 v[7:8], null, s20, v4, 0
	v_mul_lo_u32 v11, s20, v9
	v_sub_co_u32 v7, vcc_lo, v5, v7
	v_add3_u32 v8, v8, v11, v10
	v_sub_nc_u32_e32 v10, v6, v8
	v_subrev_co_ci_u32_e64 v10, s0, s21, v10, vcc_lo
	v_add_co_u32 v11, s0, v4, 2
	v_add_co_ci_u32_e64 v12, s0, 0, v9, s0
	v_sub_co_u32 v13, s0, v7, s20
	v_sub_co_ci_u32_e32 v8, vcc_lo, v6, v8, vcc_lo
	v_subrev_co_ci_u32_e64 v10, s0, 0, v10, s0
	v_cmp_le_u32_e32 vcc_lo, s20, v13
	v_cmp_eq_u32_e64 s0, s21, v8
	v_cndmask_b32_e64 v13, 0, -1, vcc_lo
	v_cmp_le_u32_e32 vcc_lo, s21, v10
	v_cndmask_b32_e64 v14, 0, -1, vcc_lo
	v_cmp_le_u32_e32 vcc_lo, s20, v7
	;; [unrolled: 2-line block ×3, first 2 shown]
	v_cndmask_b32_e64 v15, 0, -1, vcc_lo
	v_cmp_eq_u32_e32 vcc_lo, s21, v10
	v_cndmask_b32_e64 v7, v15, v7, s0
	v_cndmask_b32_e32 v10, v14, v13, vcc_lo
	v_add_co_u32 v13, vcc_lo, v4, 1
	v_add_co_ci_u32_e32 v14, vcc_lo, 0, v9, vcc_lo
	v_cmp_ne_u32_e32 vcc_lo, 0, v10
	v_cndmask_b32_e32 v8, v14, v12, vcc_lo
	v_cndmask_b32_e32 v10, v13, v11, vcc_lo
	v_cmp_ne_u32_e32 vcc_lo, 0, v7
	v_cndmask_b32_e32 v8, v9, v8, vcc_lo
	v_cndmask_b32_e32 v7, v4, v10, vcc_lo
.LBB0_4:                                ;   in Loop: Header=BB0_2 Depth=1
	s_andn2_saveexec_b32 s0, s1
	s_cbranch_execz .LBB0_6
; %bb.5:                                ;   in Loop: Header=BB0_2 Depth=1
	v_cvt_f32_u32_e32 v4, s20
	s_sub_i32 s1, 0, s20
	v_rcp_iflag_f32_e32 v4, v4
	v_mul_f32_e32 v4, 0x4f7ffffe, v4
	v_cvt_u32_f32_e32 v4, v4
	v_mul_lo_u32 v7, s1, v4
	v_mul_hi_u32 v7, v4, v7
	v_add_nc_u32_e32 v4, v4, v7
	v_mul_hi_u32 v4, v5, v4
	v_mul_lo_u32 v7, v4, s20
	v_add_nc_u32_e32 v8, 1, v4
	v_sub_nc_u32_e32 v7, v5, v7
	v_subrev_nc_u32_e32 v9, s20, v7
	v_cmp_le_u32_e32 vcc_lo, s20, v7
	v_cndmask_b32_e32 v7, v7, v9, vcc_lo
	v_cndmask_b32_e32 v4, v4, v8, vcc_lo
	v_cmp_le_u32_e32 vcc_lo, s20, v7
	v_add_nc_u32_e32 v8, 1, v4
	v_cndmask_b32_e32 v7, v4, v8, vcc_lo
	v_mov_b32_e32 v8, v3
.LBB0_6:                                ;   in Loop: Header=BB0_2 Depth=1
	s_or_b32 exec_lo, exec_lo, s0
	s_load_dwordx2 s[0:1], s[6:7], 0x0
	v_mul_lo_u32 v4, v8, s20
	v_mul_lo_u32 v11, v7, s21
	v_mad_u64_u32 v[9:10], null, v7, s20, 0
	s_add_u32 s18, s18, 1
	s_addc_u32 s19, s19, 0
	s_add_u32 s6, s6, 8
	s_addc_u32 s7, s7, 0
	;; [unrolled: 2-line block ×3, first 2 shown]
	v_add3_u32 v4, v10, v11, v4
	v_sub_co_u32 v5, vcc_lo, v5, v9
	v_sub_co_ci_u32_e32 v4, vcc_lo, v6, v4, vcc_lo
	s_waitcnt lgkmcnt(0)
	v_mul_lo_u32 v6, s1, v5
	v_mul_lo_u32 v4, s0, v4
	v_mad_u64_u32 v[1:2], null, s0, v5, v[1:2]
	v_cmp_ge_u64_e64 s0, s[18:19], s[10:11]
	s_and_b32 vcc_lo, exec_lo, s0
	v_add3_u32 v2, v6, v2, v4
	s_cbranch_vccnz .LBB0_9
; %bb.7:                                ;   in Loop: Header=BB0_2 Depth=1
	v_mov_b32_e32 v5, v7
	v_mov_b32_e32 v6, v8
	s_branch .LBB0_2
.LBB0_8:
	v_mov_b32_e32 v8, v6
	v_mov_b32_e32 v7, v5
.LBB0_9:
	s_lshl_b64 s[0:1], s[10:11], 3
	v_mul_hi_u32 v3, 0x1a41a42, v0
	s_add_u32 s0, s14, s0
	s_addc_u32 s1, s15, s1
                                        ; implicit-def: $vgpr36
                                        ; implicit-def: $vgpr23
                                        ; implicit-def: $vgpr35
                                        ; implicit-def: $vgpr24
                                        ; implicit-def: $vgpr34
                                        ; implicit-def: $vgpr25
                                        ; implicit-def: $vgpr32
                                        ; implicit-def: $vgpr26
                                        ; implicit-def: $vgpr31
                                        ; implicit-def: $vgpr27
                                        ; implicit-def: $vgpr29
                                        ; implicit-def: $vgpr28
                                        ; implicit-def: $vgpr22
                                        ; implicit-def: $vgpr30
                                        ; implicit-def: $vgpr21
                                        ; implicit-def: $vgpr33
                                        ; implicit-def: $vgpr20
                                        ; implicit-def: $vgpr37
                                        ; implicit-def: $vgpr19
                                        ; implicit-def: $vgpr38
                                        ; implicit-def: $vgpr39
                                        ; implicit-def: $vgpr6
                                        ; implicit-def: $vgpr40
	s_load_dwordx2 s[0:1], s[0:1], 0x0
	s_load_dwordx2 s[4:5], s[4:5], 0x20
	v_mul_u32_u24_e32 v3, 0x9c, v3
	v_sub_nc_u32_e32 v0, v0, v3
	s_waitcnt lgkmcnt(0)
	v_mul_lo_u32 v4, s0, v8
	v_mul_lo_u32 v5, s1, v7
	v_mad_u64_u32 v[1:2], null, s0, v7, v[1:2]
	v_cmp_gt_u64_e32 vcc_lo, s[4:5], v[7:8]
	v_cmp_gt_u32_e64 s0, 0x90, v0
                                        ; implicit-def: $vgpr7
	s_and_b32 s1, vcc_lo, s0
	v_add3_u32 v2, v5, v2, v4
	v_mov_b32_e32 v5, 0
	v_lshlrev_b64 v[2:3], 2, v[1:2]
	v_mov_b32_e32 v1, 0
	s_and_saveexec_b32 s4, s1
	s_cbranch_execz .LBB0_11
; %bb.10:
	v_mad_u64_u32 v[4:5], null, s2, v0, 0
	v_add_nc_u32_e32 v11, 0x90, v0
	v_add_nc_u32_e32 v13, 0x120, v0
	;; [unrolled: 1-line block ×5, first 2 shown]
	v_mad_u64_u32 v[6:7], null, s2, v11, 0
	v_mov_b32_e32 v1, v5
	v_add_nc_u32_e32 v23, 0x3f0, v0
	v_add_co_u32 v39, s1, s12, v2
	v_add_co_ci_u32_e64 v40, s1, s13, v3, s1
	v_mad_u64_u32 v[8:9], null, s3, v0, v[1:2]
	v_mov_b32_e32 v1, v7
	v_mad_u64_u32 v[9:10], null, s2, v13, 0
	v_mad_u64_u32 v[18:19], null, s2, v23, 0
	;; [unrolled: 1-line block ×3, first 2 shown]
	v_mov_b32_e32 v5, v8
	v_add_nc_u32_e32 v8, 0x1b0, v0
	v_mov_b32_e32 v1, v10
	v_add_nc_u32_e32 v26, 0x5a0, v0
	v_add_nc_u32_e32 v25, 0x510, v0
	v_lshlrev_b64 v[4:5], 2, v[4:5]
	v_mov_b32_e32 v7, v11
	v_mad_u64_u32 v[11:12], null, s2, v8, 0
	v_mad_u64_u32 v[13:14], null, s3, v13, v[1:2]
	;; [unrolled: 1-line block ×3, first 2 shown]
	v_lshlrev_b64 v[6:7], 2, v[6:7]
	v_add_co_u32 v4, s1, v39, v4
	v_mov_b32_e32 v1, v12
	v_mov_b32_e32 v10, v13
	v_add_co_ci_u32_e64 v5, s1, v40, v5, s1
	v_add_co_u32 v6, s1, v39, v6
	v_mad_u64_u32 v[12:13], null, s3, v8, v[1:2]
	v_mov_b32_e32 v1, v15
	v_lshlrev_b64 v[8:9], 2, v[9:10]
	v_add_co_ci_u32_e64 v7, s1, v40, v7, s1
	v_mad_u64_u32 v[33:34], null, s2, v26, 0
	v_mad_u64_u32 v[15:16], null, s3, v16, v[1:2]
	;; [unrolled: 1-line block ×3, first 2 shown]
	v_lshlrev_b64 v[10:11], 2, v[11:12]
	v_mad_u64_u32 v[12:13], null, s2, v22, 0
	v_add_co_u32 v8, s1, v39, v8
	v_add_co_ci_u32_e64 v9, s1, v40, v9, s1
	v_mov_b32_e32 v1, v17
	v_add_co_u32 v10, s1, v39, v10
	v_add_co_ci_u32_e64 v11, s1, v40, v11, s1
	v_mad_u64_u32 v[20:21], null, s3, v20, v[1:2]
	v_mov_b32_e32 v1, v13
	v_lshlrev_b64 v[13:14], 2, v[14:15]
	v_mov_b32_e32 v15, v19
	v_mad_u64_u32 v[31:32], null, s2, v25, 0
	v_add_nc_u32_e32 v41, 0x630, v0
	v_mov_b32_e32 v17, v20
	v_mad_u64_u32 v[19:20], null, s3, v22, v[1:2]
	v_mad_u64_u32 v[20:21], null, s3, v23, v[15:16]
	v_add_nc_u32_e32 v23, 0x480, v0
	v_add_co_u32 v21, s1, v39, v13
	v_add_co_ci_u32_e64 v22, s1, v40, v14, s1
	v_lshlrev_b64 v[14:15], 2, v[16:17]
	v_mad_u64_u32 v[16:17], null, s2, v23, 0
	v_mov_b32_e32 v13, v19
	v_mov_b32_e32 v19, v20
	;; [unrolled: 1-line block ×3, first 2 shown]
	v_add_co_u32 v14, s1, v39, v14
	v_lshlrev_b64 v[12:13], 2, v[12:13]
	v_mov_b32_e32 v1, v17
	v_lshlrev_b64 v[18:19], 2, v[18:19]
	v_mad_u64_u32 v[34:35], null, s3, v26, v[20:21]
	v_add_nc_u32_e32 v42, 0x6c0, v0
	v_mad_u64_u32 v[23:24], null, s3, v23, v[1:2]
	v_mad_u64_u32 v[35:36], null, s2, v41, 0
	v_add_co_ci_u32_e64 v15, s1, v40, v15, s1
	v_mov_b32_e32 v1, v32
	v_add_co_u32 v12, s1, v39, v12
	v_mov_b32_e32 v17, v23
	v_add_co_ci_u32_e64 v13, s1, v40, v13, s1
	v_add_co_u32 v18, s1, v39, v18
	v_mad_u64_u32 v[37:38], null, s2, v42, 0
	v_mad_u64_u32 v[29:30], null, s3, v25, v[1:2]
	v_add_co_ci_u32_e64 v19, s1, v40, v19, s1
	s_clause 0x7
	global_load_dword v1, v[4:5], off
	global_load_dword v23, v[6:7], off
	;; [unrolled: 1-line block ×8, first 2 shown]
	v_lshlrev_b64 v[5:6], 2, v[16:17]
	v_mov_b32_e32 v4, v36
	v_mov_b32_e32 v32, v29
	v_mad_u64_u32 v[7:8], null, s3, v41, v[4:5]
	v_mov_b32_e32 v4, v38
	v_add_co_u32 v5, s1, v39, v5
	v_lshlrev_b64 v[8:9], 2, v[31:32]
	v_add_co_ci_u32_e64 v6, s1, v40, v6, s1
	v_mad_u64_u32 v[10:11], null, s3, v42, v[4:5]
	v_lshlrev_b64 v[11:12], 2, v[33:34]
	v_mov_b32_e32 v36, v7
	v_add_co_u32 v7, s1, v39, v8
	v_add_co_ci_u32_e64 v8, s1, v40, v9, s1
	v_mov_b32_e32 v38, v10
	v_lshlrev_b64 v[13:14], 2, v[35:36]
	v_add_co_u32 v9, s1, v39, v11
	v_add_co_ci_u32_e64 v10, s1, v40, v12, s1
	v_lshlrev_b64 v[11:12], 2, v[37:38]
	v_add_co_u32 v13, s1, v39, v13
	v_add_co_ci_u32_e64 v14, s1, v40, v14, s1
	v_add_co_u32 v11, s1, v39, v11
	v_add_co_ci_u32_e64 v12, s1, v40, v12, s1
	s_clause 0x4
	global_load_dword v33, v[5:6], off
	global_load_dword v37, v[7:8], off
	;; [unrolled: 1-line block ×5, first 2 shown]
	s_waitcnt vmcnt(12)
	v_lshrrev_b32_e32 v5, 16, v1
	s_waitcnt vmcnt(11)
	v_lshrrev_b32_e32 v36, 16, v23
	;; [unrolled: 2-line block ×13, first 2 shown]
.LBB0_11:
	s_or_b32 exec_lo, exec_lo, s4
	s_and_saveexec_b32 s1, s0
	s_cbranch_execz .LBB0_13
; %bb.12:
	v_sub_f16_e32 v8, v36, v6
	v_add_f16_e32 v4, v1, v23
	v_add_f16_e32 v9, v23, v40
	v_sub_f16_e32 v11, v35, v7
	v_add_f16_e32 v10, v24, v39
	v_pk_mul_f16 v42, 0xba95b770, v8 op_sel_hi:[1,0]
	v_add_f16_e32 v4, v4, v24
	v_sub_f16_e32 v13, v34, v19
	v_pk_mul_f16 v43, 0xbb7bba95, v11 op_sel_hi:[1,0]
	v_add_f16_e32 v12, v25, v38
	v_pk_fma_f16 v53, 0x388b3b15, v9, v42 op_sel_hi:[1,0,1]
	v_add_f16_e32 v4, v4, v25
	v_sub_f16_e32 v15, v32, v20
	v_pk_mul_f16 v44, 0xb3a8bbf1, v13 op_sel_hi:[1,0]
	v_pk_mul_f16 v48, 0xbb7bbbf1, v8 op_sel_hi:[1,0]
	;; [unrolled: 1-line block ×3, first 2 shown]
	v_pk_fma_f16 v8, 0xb5ac388b, v10, v43 op_sel_hi:[1,0,1]
	v_pk_add_f16 v53, v1, v53 op_sel_hi:[0,1]
	v_add_f16_e32 v4, v4, v26
	v_add_f16_e32 v14, v26, v37
	v_pk_mul_f16 v45, 0x394ebb7b, v15 op_sel_hi:[1,0]
	v_pk_fma_f16 v55, 0xbbc42fb7, v12, v44 op_sel_hi:[1,0,1]
	v_pk_add_f16 v8, v8, v53
	v_sub_f16_e32 v17, v31, v21
	v_pk_mul_f16 v49, 0x394eb3a8, v11 op_sel_hi:[1,0]
	v_pk_fma_f16 v53, 0xb5ac2fb7, v9, v48 op_sel_hi:[1,0,1]
	v_add_f16_e32 v4, v4, v27
	v_pk_mul_f16 v11, 0x37703bf1, v11 op_sel_hi:[1,0]
	v_pk_fma_f16 v56, 0xb9fdb5ac, v14, v45 op_sel_hi:[1,0,1]
	v_pk_add_f16 v8, v55, v8
	v_pk_fma_f16 v59, 0xbbc4b9fd, v9, v54 op_sel_hi:[1,0,1]
	v_pk_fma_f16 v54, 0xbbc4b9fd, v9, v54 op_sel_hi:[1,0,1] neg_lo:[0,0,1] neg_hi:[0,0,1]
	v_add_f16_e32 v16, v27, v33
	v_pk_mul_f16 v46, 0x3bf1b94e, v17 op_sel_hi:[1,0]
	v_pk_fma_f16 v58, 0xb9fdbbc4, v10, v49 op_sel_hi:[1,0,1]
	v_pk_add_f16 v53, v1, v53 op_sel_hi:[0,1]
	v_pk_fma_f16 v48, 0xb5ac2fb7, v9, v48 op_sel_hi:[1,0,1] neg_lo:[0,0,1] neg_hi:[0,0,1]
	v_pk_fma_f16 v9, 0x388b3b15, v9, v42 op_sel_hi:[1,0,1] neg_lo:[0,0,1] neg_hi:[0,0,1]
	v_add_f16_e32 v4, v4, v28
	v_pk_mul_f16 v50, 0x37703b7b, v13 op_sel_hi:[1,0]
	v_pk_mul_f16 v13, 0xb94eba95, v13 op_sel_hi:[1,0]
	v_pk_add_f16 v8, v56, v8
	v_pk_fma_f16 v56, 0x3b152fb7, v10, v11 op_sel_hi:[1,0,1]
	v_pk_add_f16 v54, v1, v54 op_sel_hi:[0,1]
	v_pk_fma_f16 v11, 0x3b152fb7, v10, v11 op_sel_hi:[1,0,1] neg_lo:[0,0,1] neg_hi:[0,0,1]
	v_pk_fma_f16 v57, 0x2fb7b9fd, v16, v46 op_sel_hi:[1,0,1]
	v_pk_add_f16 v53, v58, v53
	v_pk_add_f16 v58, v1, v59 op_sel_hi:[0,1]
	v_pk_add_f16 v48, v1, v48 op_sel_hi:[0,1]
	v_pk_fma_f16 v49, 0xb9fdbbc4, v10, v49 op_sel_hi:[1,0,1] neg_lo:[0,0,1] neg_hi:[0,0,1]
	v_pk_add_f16 v1, v1, v9 op_sel_hi:[0,1]
	v_pk_fma_f16 v9, 0xb5ac388b, v10, v43 op_sel_hi:[1,0,1] neg_lo:[0,0,1] neg_hi:[0,0,1]
	v_add_f16_e32 v4, v4, v30
	v_pk_mul_f16 v51, 0xbbf13770, v15 op_sel_hi:[1,0]
	v_pk_fma_f16 v55, 0x3b15b5ac, v12, v50 op_sel_hi:[1,0,1]
	v_pk_mul_f16 v15, 0x3a9533a8, v15 op_sel_hi:[1,0]
	v_pk_add_f16 v10, v11, v54
	v_pk_fma_f16 v11, 0xb9fd388b, v12, v13 op_sel_hi:[1,0,1] neg_lo:[0,0,1] neg_hi:[0,0,1]
	v_pk_add_f16 v8, v57, v8
	v_pk_fma_f16 v57, 0xb9fd388b, v12, v13 op_sel_hi:[1,0,1]
	v_pk_add_f16 v13, v49, v48
	v_pk_fma_f16 v43, 0x3b15b5ac, v12, v50 op_sel_hi:[1,0,1] neg_lo:[0,0,1] neg_hi:[0,0,1]
	v_pk_add_f16 v1, v9, v1
	v_pk_fma_f16 v9, 0xbbc42fb7, v12, v44 op_sel_hi:[1,0,1] neg_lo:[0,0,1] neg_hi:[0,0,1]
	v_add_f16_e32 v4, v4, v33
	v_sub_f16_e32 v41, v29, v22
	v_pk_mul_f16 v52, 0x33a8ba95, v17 op_sel_hi:[1,0]
	v_pk_add_f16 v53, v55, v53
	v_pk_fma_f16 v55, 0x2fb73b15, v14, v51 op_sel_hi:[1,0,1]
	v_pk_add_f16 v56, v56, v58
	v_pk_mul_f16 v17, 0xbb7b3770, v17 op_sel_hi:[1,0]
	v_pk_add_f16 v10, v11, v10
	v_pk_fma_f16 v11, 0x388bbbc4, v14, v15 op_sel_hi:[1,0,1] neg_lo:[0,0,1] neg_hi:[0,0,1]
	v_pk_add_f16 v12, v43, v13
	v_pk_fma_f16 v13, 0x2fb73b15, v14, v51 op_sel_hi:[1,0,1] neg_lo:[0,0,1] neg_hi:[0,0,1]
	;; [unrolled: 2-line block ×3, first 2 shown]
	v_add_f16_e32 v4, v4, v37
	v_add_f16_e32 v18, v28, v30
	v_pk_mul_f16 v47, 0x3770b3a8, v41 op_sel_hi:[1,0]
	v_pk_add_f16 v53, v55, v53
	v_pk_fma_f16 v55, 0xbbc4388b, v16, v52 op_sel_hi:[1,0,1]
	v_pk_add_f16 v56, v57, v56
	v_pk_fma_f16 v57, 0x388bbbc4, v14, v15 op_sel_hi:[1,0,1]
	v_pk_mul_f16 v59, 0x3a95b94e, v41 op_sel_hi:[1,0]
	v_pk_mul_f16 v41, 0x3bf1bb7b, v41 op_sel_hi:[1,0]
	v_pk_add_f16 v10, v11, v10
	v_pk_fma_f16 v11, 0xb5ac3b15, v16, v17 op_sel_hi:[1,0,1] neg_lo:[0,0,1] neg_hi:[0,0,1]
	v_pk_add_f16 v12, v13, v12
	v_pk_fma_f16 v13, 0xbbc4388b, v16, v52 op_sel_hi:[1,0,1] neg_lo:[0,0,1] neg_hi:[0,0,1]
	;; [unrolled: 2-line block ×3, first 2 shown]
	v_add_f16_e32 v4, v4, v38
	v_pk_add_f16 v53, v55, v53
	v_pk_add_f16 v55, v57, v56
	v_pk_fma_f16 v42, 0xb5ac3b15, v16, v17 op_sel_hi:[1,0,1]
	v_pk_add_f16 v10, v11, v10
	v_pk_fma_f16 v11, 0x2fb7b5ac, v18, v41 op_sel_hi:[1,0,1] neg_lo:[0,0,1] neg_hi:[0,0,1]
	v_pk_add_f16 v12, v13, v12
	v_pk_fma_f16 v13, 0x388bb9fd, v18, v59 op_sel_hi:[1,0,1] neg_lo:[0,0,1] neg_hi:[0,0,1]
	;; [unrolled: 2-line block ×3, first 2 shown]
	v_add_f16_e32 v4, v4, v39
	v_pk_fma_f16 v58, 0x3b15bbc4, v18, v47 op_sel_hi:[1,0,1]
	v_pk_fma_f16 v56, 0x388bb9fd, v18, v59 op_sel_hi:[1,0,1]
	v_pk_add_f16 v14, v42, v55
	v_pk_fma_f16 v15, 0x2fb7b5ac, v18, v41 op_sel_hi:[1,0,1]
	v_pk_add_f16 v11, v11, v10
	v_pk_add_f16 v12, v13, v12
	;; [unrolled: 1-line block ×3, first 2 shown]
	v_add_f16_e32 v4, v4, v40
	v_mad_u32_u24 v60, v0, 26, 0
	v_pk_add_f16 v8, v58, v8
	v_pk_add_f16 v9, v56, v53
	;; [unrolled: 1-line block ×3, first 2 shown]
	v_alignbit_b32 v11, v11, v11, 16
	v_alignbit_b32 v12, v12, v12, 16
	;; [unrolled: 1-line block ×3, first 2 shown]
	ds_write_b16 v60, v4
	ds_write_b128 v60, v[8:11] offset:2
	ds_write_b64 v60, v[12:13] offset:18
.LBB0_13:
	s_or_b32 exec_lo, exec_lo, s1
	v_lshl_add_u32 v4, v0, 1, 0
	s_waitcnt lgkmcnt(0)
	s_barrier
	buffer_gl0_inv
	ds_read_u16 v1, v4
	ds_read_u16 v8, v4 offset:312
	ds_read_u16 v9, v4 offset:624
	;; [unrolled: 1-line block ×11, first 2 shown]
	s_waitcnt lgkmcnt(0)
	s_barrier
	buffer_gl0_inv
	s_and_saveexec_b32 s1, s0
	s_cbranch_execz .LBB0_15
; %bb.14:
	v_add_f16_e32 v41, v5, v36
	v_sub_f16_e32 v23, v23, v40
	v_add_f16_e32 v40, v35, v7
	v_sub_f16_e32 v24, v24, v39
	v_add_f16_e32 v39, v34, v19
	v_add_f16_e32 v35, v41, v35
	v_sub_f16_e32 v28, v28, v30
	v_add_f16_e32 v36, v36, v6
	v_sub_f16_e32 v25, v25, v38
	v_add_f16_e32 v38, v32, v20
	;; [unrolled: 5-line block ×3, first 2 shown]
	v_add_f16_e32 v30, v34, v32
	v_pk_mul_f16 v32, 0xba95b770, v23 op_sel_hi:[1,0]
	v_pk_mul_f16 v34, 0xbb7bba95, v24 op_sel_hi:[1,0]
	;; [unrolled: 1-line block ×4, first 2 shown]
	v_add_f16_e32 v30, v30, v31
	v_pk_fma_f16 v46, 0x388b3b15, v36, v32 op_sel_hi:[1,0,1] neg_lo:[0,0,1] neg_hi:[0,0,1]
	v_pk_fma_f16 v47, 0xb5ac388b, v40, v34 op_sel_hi:[1,0,1] neg_lo:[0,0,1] neg_hi:[0,0,1]
	v_pk_mul_f16 v43, 0xbb7bbbf1, v23 op_sel_hi:[1,0]
	v_pk_mul_f16 v31, 0x3bf1b94e, v27 op_sel_hi:[1,0]
	v_add_f16_e32 v29, v30, v29
	v_pk_add_f16 v46, v5, v46 op_sel_hi:[0,1]
	v_pk_mul_f16 v44, 0x394eb3a8, v24 op_sel_hi:[1,0]
	v_pk_fma_f16 v48, 0xb9fdb5ac, v38, v41 op_sel_hi:[1,0,1] neg_lo:[0,0,1] neg_hi:[0,0,1]
	v_pk_mul_f16 v42, 0x3770b3a8, v28 op_sel_hi:[1,0]
	v_add_f16_e32 v22, v29, v22
	v_pk_fma_f16 v29, 0xbbc42fb7, v39, v37 op_sel_hi:[1,0,1] neg_lo:[0,0,1] neg_hi:[0,0,1]
	v_pk_mul_f16 v30, 0x37703b7b, v25 op_sel_hi:[1,0]
	v_pk_fma_f16 v49, 0x2fb7b9fd, v35, v31 op_sel_hi:[1,0,1] neg_lo:[0,0,1] neg_hi:[0,0,1]
	v_pk_mul_f16 v23, 0xb3a8b94e, v23 op_sel_hi:[1,0]
	v_add_f16_e32 v21, v22, v21
	v_pk_fma_f16 v22, 0x388b3b15, v36, v32 op_sel_hi:[1,0,1]
	v_pk_fma_f16 v32, 0xb5ac388b, v40, v34 op_sel_hi:[1,0,1]
	;; [unrolled: 1-line block ×3, first 2 shown]
	v_pk_add_f16 v37, v47, v46
	v_add_f16_e32 v20, v21, v20
	v_pk_add_f16 v22, v5, v22 op_sel_hi:[0,1]
	v_pk_fma_f16 v21, 0xb9fdb5ac, v38, v41 op_sel_hi:[1,0,1]
	v_pk_fma_f16 v41, 0xb5ac2fb7, v36, v43 op_sel_hi:[1,0,1] neg_lo:[0,0,1] neg_hi:[0,0,1]
	v_pk_add_f16 v29, v29, v37
	v_add_f16_e32 v19, v20, v19
	v_pk_add_f16 v22, v32, v22
	v_pk_fma_f16 v20, 0xb9fdbbc4, v40, v44 op_sel_hi:[1,0,1] neg_lo:[0,0,1] neg_hi:[0,0,1]
	v_pk_add_f16 v32, v5, v41 op_sel_hi:[0,1]
	v_pk_add_f16 v29, v48, v29
	v_add_f16_e32 v7, v19, v7
	v_pk_add_f16 v22, v34, v22
	v_pk_fma_f16 v19, 0x3b15b5ac, v39, v30 op_sel_hi:[1,0,1] neg_lo:[0,0,1] neg_hi:[0,0,1]
	v_pk_add_f16 v20, v20, v32
	v_pk_add_f16 v29, v49, v29
	v_add_f16_e32 v7, v7, v6
	v_pk_fma_f16 v6, 0x3b15bbc4, v33, v42 op_sel_hi:[1,0,1] neg_lo:[0,0,1] neg_hi:[0,0,1]
	v_pk_add_f16 v21, v21, v22
	v_pk_fma_f16 v22, 0x2fb7b9fd, v35, v31 op_sel_hi:[1,0,1]
	v_pk_fma_f16 v34, 0xb5ac2fb7, v36, v43 op_sel_hi:[1,0,1]
	v_pk_add_f16 v20, v19, v20
	v_pk_add_f16 v19, v6, v29
	v_pk_fma_f16 v29, 0xb9fdbbc4, v40, v44 op_sel_hi:[1,0,1]
	v_pk_add_f16 v6, v22, v21
	v_pk_add_f16 v22, v5, v34 op_sel_hi:[0,1]
	v_pk_mul_f16 v24, 0x37703bf1, v24 op_sel_hi:[1,0]
	v_pk_mul_f16 v45, 0xbbf13770, v26 op_sel_hi:[1,0]
	;; [unrolled: 1-line block ×4, first 2 shown]
	v_pk_add_f16 v22, v29, v22
	v_pk_fma_f16 v29, 0x3b15b5ac, v39, v30 op_sel_hi:[1,0,1]
	v_pk_fma_f16 v30, 0xbbc4b9fd, v36, v23 op_sel_hi:[1,0,1]
	v_pk_fma_f16 v23, 0xbbc4b9fd, v36, v23 op_sel_hi:[1,0,1] neg_lo:[0,0,1] neg_hi:[0,0,1]
	v_pk_fma_f16 v31, 0x2fb73b15, v38, v45 op_sel_hi:[1,0,1] neg_lo:[0,0,1] neg_hi:[0,0,1]
	v_pk_mul_f16 v26, 0x3a9533a8, v26 op_sel_hi:[1,0]
	v_pk_add_f16 v22, v29, v22
	v_pk_add_f16 v29, v5, v30 op_sel_hi:[0,1]
	v_pk_fma_f16 v30, 0x3b152fb7, v40, v24 op_sel_hi:[1,0,1]
	v_pk_add_f16 v5, v5, v23 op_sel_hi:[0,1]
	v_pk_fma_f16 v23, 0x3b152fb7, v40, v24 op_sel_hi:[1,0,1] neg_lo:[0,0,1] neg_hi:[0,0,1]
	v_pk_fma_f16 v24, 0x2fb73b15, v38, v45 op_sel_hi:[1,0,1]
	v_pk_add_f16 v20, v31, v20
	v_pk_add_f16 v29, v30, v29
	v_pk_fma_f16 v30, 0xb9fd388b, v39, v25 op_sel_hi:[1,0,1]
	v_pk_add_f16 v5, v23, v5
	v_pk_fma_f16 v23, 0xb9fd388b, v39, v25 op_sel_hi:[1,0,1] neg_lo:[0,0,1] neg_hi:[0,0,1]
	v_pk_fma_f16 v21, 0xbbc4388b, v35, v32 op_sel_hi:[1,0,1] neg_lo:[0,0,1] neg_hi:[0,0,1]
	v_pk_add_f16 v22, v24, v22
	v_pk_add_f16 v24, v30, v29
	v_pk_fma_f16 v25, 0x388bbbc4, v38, v26 op_sel_hi:[1,0,1]
	v_pk_mul_f16 v27, 0xbb7b3770, v27 op_sel_hi:[1,0]
	v_pk_add_f16 v5, v23, v5
	v_pk_fma_f16 v23, 0x388bbbc4, v38, v26 op_sel_hi:[1,0,1] neg_lo:[0,0,1] neg_hi:[0,0,1]
	v_pk_add_f16 v20, v21, v20
	v_pk_mul_f16 v21, 0x3a95b94e, v28 op_sel_hi:[1,0]
	v_pk_add_f16 v24, v25, v24
	v_pk_fma_f16 v25, 0xb5ac3b15, v35, v27 op_sel_hi:[1,0,1]
	v_pk_mul_f16 v28, 0x3bf1bb7b, v28 op_sel_hi:[1,0]
	v_pk_fma_f16 v26, 0xbbc4388b, v35, v32 op_sel_hi:[1,0,1]
	v_pk_add_f16 v5, v23, v5
	v_pk_fma_f16 v23, 0xb5ac3b15, v35, v27 op_sel_hi:[1,0,1] neg_lo:[0,0,1] neg_hi:[0,0,1]
	v_pk_add_f16 v24, v25, v24
	v_pk_fma_f16 v25, 0x2fb7b5ac, v33, v28 op_sel_hi:[1,0,1]
	v_pk_fma_f16 v31, 0x3b15bbc4, v33, v42 op_sel_hi:[1,0,1]
	v_pk_fma_f16 v34, 0x388bb9fd, v33, v21 op_sel_hi:[1,0,1] neg_lo:[0,0,1] neg_hi:[0,0,1]
	v_pk_add_f16 v22, v26, v22
	v_pk_fma_f16 v21, 0x388bb9fd, v33, v21 op_sel_hi:[1,0,1]
	v_pk_add_f16 v5, v23, v5
	v_pk_fma_f16 v23, 0x2fb7b5ac, v33, v28 op_sel_hi:[1,0,1] neg_lo:[0,0,1] neg_hi:[0,0,1]
	v_pk_add_f16 v24, v25, v24
	v_pk_add_f16 v6, v31, v6
	;; [unrolled: 1-line block ×5, first 2 shown]
	v_mad_u32_u24 v23, v0, 24, v4
	v_alignbit_b32 v22, v24, v24, 16
	v_alignbit_b32 v5, v25, v25, 16
	;; [unrolled: 1-line block ×3, first 2 shown]
	ds_write_b16 v23, v7
	ds_write_b128 v23, v[19:22] offset:2
	ds_write_b64 v23, v[5:6] offset:18
.LBB0_15:
	s_or_b32 exec_lo, exec_lo, s1
	v_and_b32_e32 v27, 0xff, v0
	v_add_nc_u32_e32 v5, 0x9c, v0
	v_mov_b32_e32 v19, 0x4ec5
	v_add_nc_u32_e32 v6, 0x138, v0
	v_mov_b32_e32 v30, 3
	v_mul_lo_u16 v7, 0x4f, v27
	s_waitcnt lgkmcnt(0)
	v_mul_u32_u24_sdwa v20, v5, v19 dst_sel:DWORD dst_unused:UNUSED_PAD src0_sel:WORD_0 src1_sel:DWORD
	v_mul_u32_u24_sdwa v21, v6, v19 dst_sel:DWORD dst_unused:UNUSED_PAD src0_sel:WORD_0 src1_sel:DWORD
	s_barrier
	v_lshrrev_b16 v28, 10, v7
	v_add_nc_u32_e32 v7, 0x1d4, v0
	v_lshrrev_b32_e32 v29, 18, v20
	v_lshrrev_b32_e32 v31, 18, v21
	buffer_gl0_inv
	v_mul_lo_u16 v20, v28, 13
	v_mul_u32_u24_sdwa v19, v7, v19 dst_sel:DWORD dst_unused:UNUSED_PAD src0_sel:WORD_0 src1_sel:DWORD
	v_mul_lo_u16 v21, v29, 13
	v_mul_lo_u16 v27, 0xa5, v27
	v_mov_b32_e32 v45, 0xa41b
	v_sub_nc_u16 v32, v0, v20
	v_mul_lo_u16 v20, v31, 13
	v_lshrrev_b32_e32 v34, 18, v19
	v_sub_nc_u16 v33, v5, v21
	v_lshrrev_b16 v27, 8, v27
	v_lshlrev_b32_sdwa v21, v30, v32 dst_sel:DWORD dst_unused:UNUSED_PAD src0_sel:DWORD src1_sel:BYTE_0
	v_sub_nc_u16 v35, v6, v20
	v_mul_lo_u16 v23, v34, 13
	v_lshlrev_b32_sdwa v22, v30, v33 dst_sel:DWORD dst_unused:UNUSED_PAD src0_sel:DWORD src1_sel:WORD_0
	v_sub_nc_u16 v46, v0, v27
	global_load_dwordx2 v[19:20], v21, s[8:9]
	v_lshlrev_b32_sdwa v24, v30, v35 dst_sel:DWORD dst_unused:UNUSED_PAD src0_sel:DWORD src1_sel:WORD_0
	v_sub_nc_u16 v36, v7, v23
	v_mul_u32_u24_sdwa v51, v5, v45 dst_sel:DWORD dst_unused:UNUSED_PAD src0_sel:WORD_0 src1_sel:DWORD
	v_lshrrev_b16 v46, 1, v46
	v_mov_b32_e32 v52, 0x4e
	s_clause 0x1
	global_load_dwordx2 v[23:24], v24, s[8:9]
	global_load_dwordx2 v[21:22], v22, s[8:9]
	v_lshlrev_b32_sdwa v25, v30, v36 dst_sel:DWORD dst_unused:UNUSED_PAD src0_sel:DWORD src1_sel:WORD_0
	v_lshrrev_b32_e32 v51, 16, v51
	v_and_b32_e32 v46, 0x7f, v46
	v_mul_u32_u24_sdwa v45, v6, v45 dst_sel:DWORD dst_unused:UNUSED_PAD src0_sel:WORD_0 src1_sel:DWORD
	v_mul_u32_u24_sdwa v28, v28, v52 dst_sel:DWORD dst_unused:UNUSED_PAD src0_sel:WORD_0 src1_sel:DWORD
	global_load_dwordx2 v[25:26], v25, s[8:9]
	v_sub_nc_u16 v52, v5, v51
	v_add_nc_u16 v27, v46, v27
	v_lshrrev_b32_e32 v45, 16, v45
	ds_read_u16 v37, v4
	ds_read_u16 v38, v4 offset:312
	ds_read_u16 v39, v4 offset:624
	;; [unrolled: 1-line block ×7, first 2 shown]
	v_lshrrev_b16 v46, 1, v52
	v_lshrrev_b16 v27, 5, v27
	v_sub_nc_u16 v54, v6, v45
	ds_read_u16 v47, v4 offset:2496
	ds_read_u16 v48, v4 offset:2808
	;; [unrolled: 1-line block ×4, first 2 shown]
	v_mov_b32_e32 v53, 1
	v_add_nc_u16 v46, v46, v51
	v_and_b32_e32 v27, 7, v27
	v_lshrrev_b16 v52, 1, v54
	v_mul_u32_u24_e32 v29, 0x4e, v29
	v_lshlrev_b32_sdwa v33, v53, v33 dst_sel:DWORD dst_unused:UNUSED_PAD src0_sel:DWORD src1_sel:WORD_0
	v_lshrrev_b16 v46, 5, v46
	v_mul_lo_u16 v51, v27, 39
	v_add_nc_u16 v45, v52, v45
	v_mul_u32_u24_e32 v34, 0x4e, v34
	v_lshlrev_b32_sdwa v36, v53, v36 dst_sel:DWORD dst_unused:UNUSED_PAD src0_sel:DWORD src1_sel:WORD_0
	v_mul_lo_u16 v52, v46, 39
	v_sub_nc_u16 v51, v0, v51
	v_add3_u32 v29, 0, v29, v33
	v_lshlrev_b32_sdwa v32, v53, v32 dst_sel:DWORD dst_unused:UNUSED_PAD src0_sel:DWORD src1_sel:BYTE_0
	v_add3_u32 v34, 0, v34, v36
	v_sub_nc_u16 v33, v5, v52
	v_mul_u32_u24_sdwa v52, v51, v30 dst_sel:DWORD dst_unused:UNUSED_PAD src0_sel:BYTE_0 src1_sel:DWORD
	v_lshrrev_b16 v45, 5, v45
	v_add3_u32 v28, 0, v28, v32
	v_mul_u32_u24_e32 v31, 0x4e, v31
	v_lshlrev_b32_sdwa v35, v53, v35 dst_sel:DWORD dst_unused:UNUSED_PAD src0_sel:DWORD src1_sel:WORD_0
	v_lshlrev_b32_e32 v36, 2, v52
	v_mul_lo_u16 v32, v45, 39
	s_waitcnt vmcnt(0) lgkmcnt(0)
	s_barrier
	v_add3_u32 v31, 0, v31, v35
	v_mul_u32_u24_sdwa v35, v33, v30 dst_sel:DWORD dst_unused:UNUSED_PAD src0_sel:WORD_0 src1_sel:DWORD
	v_sub_nc_u16 v32, v6, v32
	buffer_gl0_inv
	v_mul_f16_sdwa v52, v43, v19 dst_sel:DWORD dst_unused:UNUSED_PAD src0_sel:DWORD src1_sel:WORD_1
	v_mul_f16_sdwa v54, v18, v19 dst_sel:DWORD dst_unused:UNUSED_PAD src0_sel:DWORD src1_sel:WORD_1
	;; [unrolled: 1-line block ×4, first 2 shown]
	v_fmac_f16_e32 v52, v18, v19
	v_mul_f16_sdwa v18, v41, v23 dst_sel:DWORD dst_unused:UNUSED_PAD src0_sel:DWORD src1_sel:WORD_1
	v_mul_f16_sdwa v57, v40, v21 dst_sel:DWORD dst_unused:UNUSED_PAD src0_sel:DWORD src1_sel:WORD_1
	;; [unrolled: 1-line block ×5, first 2 shown]
	v_fma_f16 v19, v43, v19, -v54
	v_mul_f16_sdwa v43, v12, v23 dst_sel:DWORD dst_unused:UNUSED_PAD src0_sel:DWORD src1_sel:WORD_1
	v_fmac_f16_e32 v55, v17, v20
	v_mul_f16_sdwa v17, v49, v24 dst_sel:DWORD dst_unused:UNUSED_PAD src0_sel:DWORD src1_sel:WORD_1
	v_fma_f16 v20, v47, v20, -v56
	v_mul_f16_sdwa v47, v15, v24 dst_sel:DWORD dst_unused:UNUSED_PAD src0_sel:DWORD src1_sel:WORD_1
	v_mul_f16_sdwa v54, v42, v25 dst_sel:DWORD dst_unused:UNUSED_PAD src0_sel:DWORD src1_sel:WORD_1
	v_fmac_f16_e32 v57, v14, v21
	v_mul_f16_sdwa v14, v50, v26 dst_sel:DWORD dst_unused:UNUSED_PAD src0_sel:DWORD src1_sel:WORD_1
	v_mul_f16_sdwa v56, v11, v25 dst_sel:DWORD dst_unused:UNUSED_PAD src0_sel:DWORD src1_sel:WORD_1
	v_fma_f16 v21, v40, v21, -v58
	v_mul_f16_sdwa v40, v13, v26 dst_sel:DWORD dst_unused:UNUSED_PAD src0_sel:DWORD src1_sel:WORD_1
	v_fmac_f16_e32 v59, v16, v22
	v_fma_f16 v16, v48, v22, -v60
	v_fmac_f16_e32 v18, v12, v23
	v_fma_f16 v12, v41, v23, -v43
	v_fmac_f16_e32 v17, v15, v24
	v_fma_f16 v15, v49, v24, -v47
	v_fmac_f16_e32 v54, v11, v25
	v_fmac_f16_e32 v14, v13, v26
	v_fma_f16 v11, v42, v25, -v56
	v_fma_f16 v13, v50, v26, -v40
	v_add_f16_e32 v23, v52, v55
	v_sub_f16_e32 v24, v19, v20
	v_add_f16_e32 v25, v37, v19
	v_add_f16_e32 v19, v19, v20
	;; [unrolled: 1-line block ×3, first 2 shown]
	v_sub_f16_e32 v26, v52, v55
	v_add_f16_e32 v40, v8, v57
	v_add_f16_e32 v41, v57, v59
	v_sub_f16_e32 v42, v21, v16
	v_add_f16_e32 v43, v38, v21
	v_add_f16_e32 v21, v21, v16
	v_sub_f16_e32 v47, v57, v59
	v_add_f16_e32 v49, v18, v17
	v_sub_f16_e32 v50, v12, v15
	v_add_f16_e32 v52, v39, v12
	v_add_f16_e32 v12, v12, v15
	;; [unrolled: 1-line block ×3, first 2 shown]
	v_sub_f16_e32 v58, v11, v13
	v_add_f16_e32 v60, v44, v11
	v_add_f16_e32 v11, v11, v13
	;; [unrolled: 1-line block ×3, first 2 shown]
	v_fmac_f16_e32 v1, -0.5, v23
	v_fmac_f16_e32 v37, -0.5, v19
	v_add_f16_e32 v48, v9, v18
	v_sub_f16_e32 v18, v18, v17
	v_fmac_f16_e32 v8, -0.5, v41
	v_fmac_f16_e32 v38, -0.5, v21
	;; [unrolled: 1-line block ×5, first 2 shown]
	v_sub_f16_e32 v54, v54, v14
	v_add_f16_e32 v22, v22, v55
	v_add_f16_e32 v20, v25, v20
	v_fmac_f16_e32 v44, -0.5, v11
	v_add_f16_e32 v12, v56, v14
	v_fmamk_f16 v11, v24, 0xbaee, v1
	v_fmamk_f16 v14, v26, 0x3aee, v37
	v_fmac_f16_e32 v1, 0x3aee, v24
	v_fmac_f16_e32 v37, 0xbaee, v26
	v_add_f16_e32 v19, v40, v59
	v_add_f16_e32 v16, v43, v16
	;; [unrolled: 1-line block ×3, first 2 shown]
	v_fmamk_f16 v21, v42, 0xbaee, v8
	v_fmamk_f16 v23, v47, 0x3aee, v38
	;; [unrolled: 1-line block ×4, first 2 shown]
	v_fmac_f16_e32 v39, 0xbaee, v18
	v_fmamk_f16 v18, v58, 0xbaee, v10
	v_add_f16_e32 v15, v52, v15
	v_add_f16_e32 v13, v60, v13
	v_fmac_f16_e32 v8, 0x3aee, v42
	v_fmac_f16_e32 v38, 0xbaee, v47
	;; [unrolled: 1-line block ×4, first 2 shown]
	v_fmamk_f16 v26, v54, 0x3aee, v44
	v_fmac_f16_e32 v44, 0xbaee, v54
	ds_write_b16 v28, v22
	ds_write_b16 v28, v11 offset:26
	ds_write_b16 v28, v1 offset:52
	ds_write_b16 v29, v19
	ds_write_b16 v29, v21 offset:26
	ds_write_b16 v29, v8 offset:52
	;; [unrolled: 3-line block ×4, first 2 shown]
	s_waitcnt lgkmcnt(0)
	s_barrier
	buffer_gl0_inv
	ds_read_u16 v1, v4
	ds_read_u16 v17, v4 offset:312
	ds_read_u16 v18, v4 offset:1248
	;; [unrolled: 1-line block ×11, first 2 shown]
	s_waitcnt lgkmcnt(0)
	s_barrier
	buffer_gl0_inv
	ds_write_b16 v28, v20
	ds_write_b16 v28, v14 offset:26
	ds_write_b16 v28, v37 offset:52
	ds_write_b16 v29, v16
	ds_write_b16 v29, v23 offset:26
	ds_write_b16 v29, v38 offset:52
	;; [unrolled: 3-line block ×4, first 2 shown]
	v_mul_u32_u24_sdwa v14, v32, v30 dst_sel:DWORD dst_unused:UNUSED_PAD src0_sel:WORD_0 src1_sel:DWORD
	v_lshlrev_b32_e32 v11, 2, v35
	s_waitcnt lgkmcnt(0)
	s_barrier
	buffer_gl0_inv
	v_lshlrev_b32_e32 v14, 2, v14
	s_clause 0x1
	global_load_dwordx3 v[8:10], v36, s[8:9] offset:104
	global_load_dwordx3 v[11:13], v11, s[8:9] offset:104
	v_mov_b32_e32 v23, 0x138
	v_lshlrev_b32_sdwa v29, v53, v32 dst_sel:DWORD dst_unused:UNUSED_PAD src0_sel:DWORD src1_sel:WORD_0
	global_load_dwordx3 v[14:16], v14, s[8:9] offset:104
	ds_read_u16 v28, v4 offset:936
	ds_read_u16 v30, v4 offset:1872
	v_mul_u32_u24_sdwa v25, v46, v23 dst_sel:DWORD dst_unused:UNUSED_PAD src0_sel:WORD_0 src1_sel:DWORD
	v_mul_u32_u24_sdwa v26, v45, v23 dst_sel:DWORD dst_unused:UNUSED_PAD src0_sel:WORD_0 src1_sel:DWORD
	;; [unrolled: 1-line block ×3, first 2 shown]
	v_lshlrev_b32_sdwa v27, v53, v33 dst_sel:DWORD dst_unused:UNUSED_PAD src0_sel:DWORD src1_sel:WORD_0
	ds_read_u16 v32, v4 offset:2808
	v_lshlrev_b32_sdwa v31, v53, v51 dst_sel:DWORD dst_unused:UNUSED_PAD src0_sel:DWORD src1_sel:BYTE_0
	v_add3_u32 v26, 0, v26, v29
	ds_read_u16 v29, v4 offset:2184
	v_add3_u32 v25, 0, v25, v27
	ds_read_u16 v27, v4 offset:1248
	;; [unrolled: 2-line block ×3, first 2 shown]
	ds_read_u16 v33, v4 offset:1560
	ds_read_u16 v34, v4 offset:3432
	;; [unrolled: 1-line block ×3, first 2 shown]
	ds_read_u16 v36, v4
	ds_read_u16 v37, v4 offset:312
	ds_read_u16 v38, v4 offset:624
	v_mul_u32_u24_e32 v20, 5, v0
	s_waitcnt vmcnt(0) lgkmcnt(0)
	s_barrier
	buffer_gl0_inv
	v_lshlrev_b32_e32 v20, 2, v20
	v_mul_f16_sdwa v39, v28, v8 dst_sel:DWORD dst_unused:UNUSED_PAD src0_sel:DWORD src1_sel:WORD_1
	v_mul_f16_sdwa v44, v24, v8 dst_sel:DWORD dst_unused:UNUSED_PAD src0_sel:DWORD src1_sel:WORD_1
	v_mul_f16_sdwa v45, v30, v9 dst_sel:DWORD dst_unused:UNUSED_PAD src0_sel:DWORD src1_sel:WORD_1
	v_mul_f16_sdwa v46, v21, v9 dst_sel:DWORD dst_unused:UNUSED_PAD src0_sel:DWORD src1_sel:WORD_1
	v_mul_f16_sdwa v48, v32, v10 dst_sel:DWORD dst_unused:UNUSED_PAD src0_sel:DWORD src1_sel:WORD_1
	v_mul_f16_sdwa v49, v43, v10 dst_sel:DWORD dst_unused:UNUSED_PAD src0_sel:DWORD src1_sel:WORD_1
	v_mul_f16_sdwa v50, v27, v11 dst_sel:DWORD dst_unused:UNUSED_PAD src0_sel:DWORD src1_sel:WORD_1
	v_mul_f16_sdwa v52, v29, v12 dst_sel:DWORD dst_unused:UNUSED_PAD src0_sel:DWORD src1_sel:WORD_1
	v_mul_f16_sdwa v54, v31, v13 dst_sel:DWORD dst_unused:UNUSED_PAD src0_sel:DWORD src1_sel:WORD_1
	v_mul_f16_sdwa v51, v18, v11 dst_sel:DWORD dst_unused:UNUSED_PAD src0_sel:DWORD src1_sel:WORD_1
	v_mul_f16_sdwa v53, v19, v12 dst_sel:DWORD dst_unused:UNUSED_PAD src0_sel:DWORD src1_sel:WORD_1
	v_mul_f16_sdwa v55, v41, v13 dst_sel:DWORD dst_unused:UNUSED_PAD src0_sel:DWORD src1_sel:WORD_1
	v_mul_f16_sdwa v56, v33, v14 dst_sel:DWORD dst_unused:UNUSED_PAD src0_sel:DWORD src1_sel:WORD_1
	v_mul_f16_sdwa v58, v35, v15 dst_sel:DWORD dst_unused:UNUSED_PAD src0_sel:DWORD src1_sel:WORD_1
	v_mul_f16_sdwa v60, v34, v16 dst_sel:DWORD dst_unused:UNUSED_PAD src0_sel:DWORD src1_sel:WORD_1
	v_mul_f16_sdwa v57, v22, v14 dst_sel:DWORD dst_unused:UNUSED_PAD src0_sel:DWORD src1_sel:WORD_1
	v_mul_f16_sdwa v59, v47, v15 dst_sel:DWORD dst_unused:UNUSED_PAD src0_sel:DWORD src1_sel:WORD_1
	v_fmac_f16_e32 v39, v24, v8
	v_mul_f16_sdwa v24, v42, v16 dst_sel:DWORD dst_unused:UNUSED_PAD src0_sel:DWORD src1_sel:WORD_1
	v_fma_f16 v8, v28, v8, -v44
	v_fmac_f16_e32 v45, v21, v9
	v_fma_f16 v9, v30, v9, -v46
	v_fmac_f16_e32 v48, v43, v10
	;; [unrolled: 2-line block ×3, first 2 shown]
	v_fmac_f16_e32 v52, v19, v12
	v_fmac_f16_e32 v54, v41, v13
	v_fma_f16 v11, v27, v11, -v51
	v_fma_f16 v12, v29, v12, -v53
	;; [unrolled: 1-line block ×3, first 2 shown]
	v_fmac_f16_e32 v56, v22, v14
	v_fmac_f16_e32 v58, v47, v15
	;; [unrolled: 1-line block ×3, first 2 shown]
	v_fma_f16 v14, v33, v14, -v57
	v_fma_f16 v15, v35, v15, -v59
	;; [unrolled: 1-line block ×3, first 2 shown]
	v_sub_f16_e32 v9, v36, v9
	v_sub_f16_e32 v10, v8, v10
	;; [unrolled: 1-line block ×12, first 2 shown]
	v_fma_f16 v28, v36, 2.0, -v9
	v_fma_f16 v8, v8, 2.0, -v10
	v_fma_f16 v1, v1, 2.0, -v18
	v_fma_f16 v29, v39, 2.0, -v19
	v_fma_f16 v17, v17, 2.0, -v21
	v_fma_f16 v31, v50, 2.0, -v22
	v_fma_f16 v30, v37, 2.0, -v12
	v_fma_f16 v11, v11, 2.0, -v13
	v_fma_f16 v32, v40, 2.0, -v24
	v_fma_f16 v34, v56, 2.0, -v27
	v_add_f16_e32 v10, v18, v10
	v_fma_f16 v33, v38, 2.0, -v15
	v_fma_f16 v14, v14, 2.0, -v16
	v_sub_f16_e32 v8, v28, v8
	v_sub_f16_e32 v19, v9, v19
	;; [unrolled: 1-line block ×4, first 2 shown]
	v_add_f16_e32 v13, v21, v13
	v_sub_f16_e32 v22, v12, v22
	v_add_f16_e32 v16, v24, v16
	v_sub_f16_e32 v11, v30, v11
	v_sub_f16_e32 v34, v32, v34
	v_sub_f16_e32 v27, v15, v27
	v_fma_f16 v18, v18, 2.0, -v10
	v_sub_f16_e32 v14, v33, v14
	ds_write_b16 v23, v10 offset:234
	v_fma_f16 v10, v28, 2.0, -v8
	v_fma_f16 v9, v9, 2.0, -v19
	;; [unrolled: 1-line block ×11, first 2 shown]
	ds_write_b16 v23, v18 offset:78
	ds_write_b16 v23, v29 offset:156
	ds_write_b16 v23, v1
	ds_write_b16 v25, v17
	ds_write_b16 v25, v21 offset:78
	ds_write_b16 v25, v31 offset:156
	;; [unrolled: 1-line block ×3, first 2 shown]
	ds_write_b16 v26, v30
	ds_write_b16 v26, v24 offset:78
	ds_write_b16 v26, v34 offset:156
	;; [unrolled: 1-line block ×3, first 2 shown]
	s_waitcnt lgkmcnt(0)
	s_barrier
	buffer_gl0_inv
	ds_read_u16 v1, v4
	ds_read_u16 v13, v4 offset:2496
	ds_read_u16 v16, v4 offset:2184
	ds_read_u16 v17, v4 offset:1872
	ds_read_u16 v18, v4 offset:1560
	ds_read_u16 v21, v4 offset:1248
	ds_read_u16 v24, v4 offset:936
	ds_read_u16 v29, v4 offset:624
	ds_read_u16 v30, v4 offset:312
	ds_read_u16 v31, v4 offset:3432
	ds_read_u16 v33, v4 offset:3120
	ds_read_u16 v34, v4 offset:2808
	s_waitcnt lgkmcnt(0)
	s_barrier
	buffer_gl0_inv
	ds_write_b16 v23, v10
	ds_write_b16 v23, v9 offset:78
	ds_write_b16 v23, v8 offset:156
	ds_write_b16 v23, v19 offset:234
	ds_write_b16 v25, v28
	ds_write_b16 v25, v12 offset:78
	ds_write_b16 v25, v11 offset:156
	ds_write_b16 v25, v22 offset:234
	;; [unrolled: 4-line block ×3, first 2 shown]
	s_waitcnt lgkmcnt(0)
	s_barrier
	buffer_gl0_inv
	s_clause 0x1
	global_load_dwordx4 v[8:11], v20, s[8:9] offset:572
	global_load_dword v12, v20, s[8:9] offset:588
	ds_read_u16 v14, v4 offset:624
	ds_read_u16 v15, v4 offset:1248
	;; [unrolled: 1-line block ×8, first 2 shown]
	ds_read_u16 v27, v4
	ds_read_u16 v28, v4 offset:312
	ds_read_u16 v32, v4 offset:3432
	;; [unrolled: 1-line block ×3, first 2 shown]
	s_waitcnt vmcnt(0) lgkmcnt(0)
	s_barrier
	buffer_gl0_inv
	v_mul_f16_sdwa v37, v29, v8 dst_sel:DWORD dst_unused:UNUSED_PAD src0_sel:DWORD src1_sel:WORD_1
	v_mul_f16_sdwa v40, v19, v10 dst_sel:DWORD dst_unused:UNUSED_PAD src0_sel:DWORD src1_sel:WORD_1
	;; [unrolled: 1-line block ×17, first 2 shown]
	v_fma_f16 v14, v14, v8, -v37
	v_fmac_f16_e32 v40, v17, v10
	v_fma_f16 v17, v19, v10, -v41
	v_fma_f16 v19, v22, v12, -v45
	v_mul_f16_sdwa v43, v13, v11 dst_sel:DWORD dst_unused:UNUSED_PAD src0_sel:DWORD src1_sel:WORD_1
	v_mul_f16_sdwa v52, v35, v11 dst_sel:DWORD dst_unused:UNUSED_PAD src0_sel:DWORD src1_sel:WORD_1
	v_mul_f16_sdwa v53, v34, v11 dst_sel:DWORD dst_unused:UNUSED_PAD src0_sel:DWORD src1_sel:WORD_1
	v_fmac_f16_e32 v36, v29, v8
	v_fmac_f16_e32 v38, v21, v9
	;; [unrolled: 1-line block ×5, first 2 shown]
	v_fma_f16 v8, v26, v8, -v47
	v_fmac_f16_e32 v50, v16, v10
	v_fma_f16 v10, v23, v10, -v51
	v_fmac_f16_e32 v54, v31, v12
	v_fma_f16 v12, v32, v12, -v55
	v_fma_f16 v15, v15, v9, -v39
	v_fmac_f16_e32 v48, v18, v9
	v_fma_f16 v9, v25, v9, -v49
	v_sub_f16_e32 v25, v17, v19
	v_add_f16_e32 v26, v14, v17
	v_add_f16_e32 v17, v17, v19
	v_fma_f16 v13, v20, v11, -v43
	v_fmac_f16_e32 v52, v34, v11
	v_fma_f16 v11, v35, v11, -v53
	v_add_f16_e32 v18, v38, v42
	v_add_f16_e32 v23, v36, v40
	;; [unrolled: 1-line block ×3, first 2 shown]
	v_sub_f16_e32 v29, v40, v44
	v_sub_f16_e32 v39, v10, v12
	v_add_f16_e32 v40, v8, v10
	v_add_f16_e32 v10, v10, v12
	;; [unrolled: 1-line block ×4, first 2 shown]
	v_fmac_f16_e32 v14, -0.5, v17
	v_add_f16_e32 v16, v1, v38
	v_sub_f16_e32 v20, v15, v13
	v_sub_f16_e32 v22, v38, v42
	v_add_f16_e32 v31, v30, v48
	v_sub_f16_e32 v33, v9, v11
	v_add_f16_e32 v9, v9, v11
	v_add_f16_e32 v37, v46, v50
	v_add_f16_e32 v38, v50, v54
	v_sub_f16_e32 v41, v50, v54
	v_fmac_f16_e32 v1, -0.5, v18
	v_fmac_f16_e32 v36, -0.5, v24
	;; [unrolled: 1-line block ×3, first 2 shown]
	v_add_f16_e32 v15, v15, v13
	v_add_f16_e32 v13, v21, v13
	;; [unrolled: 1-line block ×4, first 2 shown]
	v_fmamk_f16 v21, v29, 0x3aee, v14
	v_fmac_f16_e32 v14, 0xbaee, v29
	v_add_f16_e32 v32, v48, v52
	v_add_f16_e32 v18, v26, v19
	;; [unrolled: 1-line block ×3, first 2 shown]
	v_fmac_f16_e32 v28, -0.5, v9
	v_add_f16_e32 v9, v37, v54
	v_fmac_f16_e32 v46, -0.5, v38
	v_fmamk_f16 v10, v20, 0xbaee, v1
	v_fmac_f16_e32 v1, 0x3aee, v20
	v_fmamk_f16 v20, v25, 0xbaee, v36
	v_fmac_f16_e32 v36, 0x3aee, v25
	;; [unrolled: 2-line block ×3, first 2 shown]
	v_add_f16_e32 v29, v11, v12
	v_sub_f16_e32 v31, v11, v12
	v_mul_f16_e32 v11, 0xbaee, v21
	v_add_f16_e32 v16, v16, v42
	v_fmac_f16_e32 v27, -0.5, v15
	v_add_f16_e32 v15, v23, v44
	v_mul_f16_e32 v12, 0xbaee, v14
	v_fmac_f16_e32 v30, -0.5, v32
	v_add_f16_e32 v23, v13, v18
	v_sub_f16_e32 v24, v13, v18
	v_fmamk_f16 v18, v39, 0xbaee, v46
	v_fmac_f16_e32 v46, 0x3aee, v39
	v_add_f16_e32 v26, v17, v9
	v_sub_f16_e32 v9, v17, v9
	v_mul_f16_e32 v17, 0.5, v21
	v_mul_f16_e32 v14, -0.5, v14
	v_mul_f16_e32 v21, 0xbaee, v25
	v_mul_f16_e32 v32, 0xbaee, v8
	v_sub_f16_e32 v35, v48, v52
	v_mul_f16_e32 v25, 0.5, v25
	v_fmac_f16_e32 v11, 0.5, v20
	v_fmamk_f16 v19, v22, 0x3aee, v27
	v_fmac_f16_e32 v27, 0xbaee, v22
	v_add_f16_e32 v22, v16, v15
	v_fmac_f16_e32 v12, -0.5, v36
	v_sub_f16_e32 v15, v16, v15
	v_fmamk_f16 v13, v33, 0xbaee, v30
	v_fmac_f16_e32 v30, 0x3aee, v33
	v_fmac_f16_e32 v14, 0x3aee, v36
	v_fmac_f16_e32 v21, 0.5, v18
	v_fmac_f16_e32 v32, -0.5, v46
	v_fmamk_f16 v16, v35, 0x3aee, v28
	v_mul_f16_e32 v33, -0.5, v8
	v_fmac_f16_e32 v17, 0x3aee, v20
	v_fmac_f16_e32 v25, 0x3aee, v18
	v_add_f16_e32 v8, v10, v11
	ds_write_b16 v4, v22
	ds_write_b16 v4, v15 offset:936
	ds_write_b16 v4, v26 offset:1872
	;; [unrolled: 1-line block ×3, first 2 shown]
	v_add_f16_e32 v9, v1, v12
	v_sub_f16_e32 v10, v10, v11
	v_sub_f16_e32 v1, v1, v12
	v_add_f16_e32 v22, v27, v14
	v_sub_f16_e32 v27, v27, v14
	v_add_f16_e32 v11, v13, v21
	v_add_f16_e32 v12, v30, v32
	v_sub_f16_e32 v13, v13, v21
	v_sub_f16_e32 v14, v30, v32
	v_add_f16_e32 v20, v19, v17
	v_sub_f16_e32 v26, v19, v17
	v_add_f16_e32 v34, v16, v25
	v_sub_f16_e32 v21, v16, v25
	ds_write_b16 v4, v8 offset:312
	ds_write_b16 v4, v9 offset:624
	;; [unrolled: 1-line block ×8, first 2 shown]
	s_waitcnt lgkmcnt(0)
	s_barrier
	buffer_gl0_inv
	ds_read_u16 v13, v4 offset:2184
	ds_read_u16 v8, v4
	ds_read_u16 v9, v4 offset:312
	ds_read_u16 v10, v4 offset:624
	;; [unrolled: 1-line block ×10, first 2 shown]
	v_fmac_f16_e32 v28, 0xbaee, v35
	v_fmac_f16_e32 v33, 0x3aee, v46
	s_waitcnt lgkmcnt(0)
	s_barrier
	buffer_gl0_inv
	v_add_f16_e32 v35, v28, v33
	v_sub_f16_e32 v1, v28, v33
	ds_write_b16 v4, v23
	ds_write_b16 v4, v20 offset:312
	ds_write_b16 v4, v22 offset:624
	;; [unrolled: 1-line block ×11, first 2 shown]
	s_waitcnt lgkmcnt(0)
	s_barrier
	buffer_gl0_inv
	s_and_saveexec_b32 s0, vcc_lo
	s_cbranch_execz .LBB0_17
; %bb.16:
	v_mov_b32_e32 v21, 0
	v_add_nc_u32_e32 v20, 0x30c, v0
	v_add_nc_u32_e32 v22, 0x270, v0
	;; [unrolled: 1-line block ×3, first 2 shown]
	v_mov_b32_e32 v23, v21
	v_lshlrev_b64 v[24:25], 2, v[20:21]
	v_mov_b32_e32 v1, v21
	v_lshrrev_b32_e32 v30, 3, v22
	v_lshrrev_b32_e32 v33, 3, v20
	v_lshlrev_b64 v[26:27], 2, v[22:23]
	v_add_co_u32 v21, vcc_lo, s8, v24
	v_add_co_ci_u32_e32 v25, vcc_lo, s9, v25, vcc_lo
	v_lshlrev_b64 v[23:24], 2, v[0:1]
	v_add_co_u32 v28, vcc_lo, 0x800, v21
	v_add_co_ci_u32_e32 v29, vcc_lo, 0, v25, vcc_lo
	v_add_co_u32 v1, vcc_lo, s8, v26
	v_add_co_ci_u32_e32 v21, vcc_lo, s9, v27, vcc_lo
	v_add_co_u32 v27, vcc_lo, s8, v23
	global_load_dword v44, v[28:29], off offset:1644
	v_add_co_ci_u32_e32 v28, vcc_lo, s9, v24, vcc_lo
	v_add_co_u32 v23, vcc_lo, 0x800, v1
	v_add_co_ci_u32_e32 v24, vcc_lo, 0, v21, vcc_lo
	v_add_co_u32 v25, vcc_lo, 0x1000, v27
	;; [unrolled: 2-line block ×3, first 2 shown]
	v_add_co_ci_u32_e32 v28, vcc_lo, 0, v28, vcc_lo
	s_clause 0x4
	global_load_dword v45, v[23:24], off offset:1644
	global_load_dword v46, v[25:26], off offset:1468
	;; [unrolled: 1-line block ×5, first 2 shown]
	v_mad_u64_u32 v[23:24], null, s2, v0, 0
	v_add_nc_u32_e32 v21, 0x3a8, v0
	v_lshrrev_b32_e32 v29, 3, v7
	v_add_co_u32 v50, vcc_lo, s12, v2
	v_add_co_ci_u32_e32 v51, vcc_lo, s13, v3, vcc_lo
	v_lshrrev_b32_e32 v3, 3, v6
	v_mad_u64_u32 v[25:26], null, s2, v21, 0
	v_mul_hi_u32 v34, 0x8c08c09, v29
	v_mad_u64_u32 v[1:2], null, s2, v5, 0
	v_mul_hi_u32 v31, 0x8c08c09, v3
	v_mov_b32_e32 v3, v24
	v_mad_u64_u32 v[27:28], null, s2, v32, 0
	v_mul_hi_u32 v24, 0x8c08c09, v30
	v_mul_hi_u32 v33, 0x8c08c09, v33
	v_mad_u64_u32 v[29:30], null, s3, v0, v[3:4]
	v_mov_b32_e32 v0, v26
	v_lshrrev_b32_e32 v26, 2, v34
	v_mad_u64_u32 v[2:3], null, s3, v5, v[2:3]
	v_mov_b32_e32 v3, v28
	v_lshrrev_b32_e32 v5, 2, v31
	v_mad_u32_u24 v40, 0x3a8, v26, v7
	v_mad_u64_u32 v[30:31], null, s3, v21, v[0:1]
	v_lshrrev_b32_e32 v0, 2, v24
	v_mad_u64_u32 v[31:32], null, s3, v32, v[3:4]
	v_mad_u32_u24 v38, 0x3a8, v5, v6
	v_lshrrev_b32_e32 v3, 2, v33
	v_mad_u64_u32 v[32:33], null, s2, v40, 0
	v_mov_b32_e32 v24, v29
	v_add_nc_u32_e32 v42, 0x3a8, v40
	v_mad_u32_u24 v43, 0x3a8, v0, v22
	v_mad_u64_u32 v[5:6], null, s2, v38, 0
	v_add_nc_u32_e32 v41, 0x3a8, v38
	v_mad_u32_u24 v52, 0x3a8, v3, v20
	v_lshlrev_b64 v[20:21], 2, v[23:24]
	v_mov_b32_e32 v26, v30
	v_mad_u64_u32 v[22:23], null, s2, v42, 0
	v_mad_u64_u32 v[29:30], null, s2, v43, 0
	v_mov_b32_e32 v7, v33
	v_lshlrev_b64 v[0:1], 2, v[1:2]
	v_mad_u64_u32 v[2:3], null, s2, v41, 0
	v_add_nc_u32_e32 v53, 0x3a8, v43
	v_mad_u64_u32 v[38:39], null, s3, v38, v[6:7]
	v_mad_u64_u32 v[34:35], null, s2, v52, 0
	;; [unrolled: 1-line block ×3, first 2 shown]
	v_mov_b32_e32 v6, v23
	v_mov_b32_e32 v7, v30
	v_add_nc_u32_e32 v54, 0x3a8, v52
	v_mad_u64_u32 v[36:37], null, s2, v53, 0
	v_mov_b32_e32 v28, v31
	v_mad_u64_u32 v[30:31], null, s3, v41, v[3:4]
	v_mad_u64_u32 v[40:41], null, s3, v42, v[6:7]
	v_lshlrev_b64 v[24:25], 2, v[25:26]
	v_add_co_u32 v20, vcc_lo, v50, v20
	v_mad_u64_u32 v[41:42], null, s3, v43, v[7:8]
	v_mad_u64_u32 v[42:43], null, s2, v54, 0
	v_mov_b32_e32 v6, v38
	v_add_co_ci_u32_e32 v21, vcc_lo, v51, v21, vcc_lo
	v_mov_b32_e32 v3, v35
	v_lshlrev_b64 v[26:27], 2, v[27:28]
	v_add_co_u32 v0, vcc_lo, v50, v0
	v_mov_b32_e32 v7, v37
	v_mov_b32_e32 v33, v39
	v_add_co_ci_u32_e32 v1, vcc_lo, v51, v1, vcc_lo
	v_add_co_u32 v24, vcc_lo, v50, v24
	v_lshlrev_b64 v[5:6], 2, v[5:6]
	v_mad_u64_u32 v[37:38], null, s3, v52, v[3:4]
	v_mov_b32_e32 v3, v30
	v_add_co_ci_u32_e32 v25, vcc_lo, v51, v25, vcc_lo
	v_add_co_u32 v26, vcc_lo, v50, v26
	v_mad_u64_u32 v[38:39], null, s3, v53, v[7:8]
	v_mov_b32_e32 v7, v43
	v_lshlrev_b64 v[31:32], 2, v[32:33]
	v_mov_b32_e32 v23, v40
	v_mov_b32_e32 v30, v41
	v_add_co_ci_u32_e32 v27, vcc_lo, v51, v27, vcc_lo
	v_lshlrev_b64 v[2:3], 2, v[2:3]
	v_add_co_u32 v5, vcc_lo, v50, v5
	v_mad_u64_u32 v[39:40], null, s3, v54, v[7:8]
	v_add_co_ci_u32_e32 v6, vcc_lo, v51, v6, vcc_lo
	v_lshlrev_b64 v[22:23], 2, v[22:23]
	v_lshlrev_b64 v[28:29], 2, v[29:30]
	v_add_co_u32 v30, vcc_lo, v50, v31
	v_mov_b32_e32 v35, v37
	v_add_co_ci_u32_e32 v31, vcc_lo, v51, v32, vcc_lo
	ds_read_u16 v52, v4 offset:3432
	ds_read_u16 v53, v4 offset:3120
	;; [unrolled: 1-line block ×4, first 2 shown]
	v_add_co_u32 v2, vcc_lo, v50, v2
	v_mov_b32_e32 v37, v38
	v_add_co_ci_u32_e32 v3, vcc_lo, v51, v3, vcc_lo
	v_lshlrev_b64 v[33:34], 2, v[34:35]
	v_add_co_u32 v22, vcc_lo, v50, v22
	v_mov_b32_e32 v43, v39
	v_add_co_ci_u32_e32 v23, vcc_lo, v51, v23, vcc_lo
	v_lshlrev_b64 v[35:36], 2, v[36:37]
	v_add_co_u32 v28, vcc_lo, v50, v28
	v_add_co_ci_u32_e32 v29, vcc_lo, v51, v29, vcc_lo
	v_lshlrev_b64 v[37:38], 2, v[42:43]
	v_add_co_u32 v32, vcc_lo, v50, v33
	v_add_co_ci_u32_e32 v33, vcc_lo, v51, v34, vcc_lo
	v_add_co_u32 v34, vcc_lo, v50, v35
	v_add_co_ci_u32_e32 v35, vcc_lo, v51, v36, vcc_lo
	v_add_co_u32 v36, vcc_lo, v50, v37
	ds_read_u16 v57, v4 offset:2184
	ds_read_u16 v58, v4 offset:1872
	v_add_co_ci_u32_e32 v37, vcc_lo, v51, v38, vcc_lo
	ds_read_u16 v59, v4 offset:1560
	s_waitcnt vmcnt(5)
	v_lshrrev_b32_e32 v7, 16, v44
	v_mul_f16_e32 v39, v19, v44
	s_waitcnt lgkmcnt(6)
	v_fmac_f16_e32 v39, v52, v7
	v_mul_f16_e32 v7, v19, v7
	v_sub_f16_e32 v39, v15, v39
	s_waitcnt vmcnt(4)
	v_lshrrev_b32_e32 v19, 16, v45
	v_mul_f16_e32 v38, v18, v45
	s_waitcnt vmcnt(3)
	v_lshrrev_b32_e32 v40, 16, v46
	v_mul_f16_e32 v41, v17, v46
	;; [unrolled: 3-line block ×3, first 2 shown]
	v_fma_f16 v7, v52, v44, -v7
	s_waitcnt lgkmcnt(5)
	v_fmac_f16_e32 v38, v53, v19
	v_mul_f16_e32 v18, v18, v19
	s_waitcnt lgkmcnt(4)
	v_fmac_f16_e32 v41, v55, v40
	v_mul_f16_e32 v17, v17, v40
	;; [unrolled: 3-line block ×3, first 2 shown]
	ds_read_u16 v19, v4 offset:1248
	ds_read_u16 v40, v4 offset:936
	;; [unrolled: 1-line block ×4, first 2 shown]
	ds_read_u16 v4, v4
	v_lshrrev_b32_e32 v54, 16, v47
	s_waitcnt vmcnt(0)
	v_lshrrev_b32_e32 v50, 16, v49
	v_mul_f16_e32 v44, v14, v47
	v_mul_f16_e32 v51, v13, v49
	v_fma_f16 v17, v55, v46, -v17
	v_mul_f16_e32 v14, v14, v54
	v_mul_f16_e32 v13, v13, v50
	s_waitcnt lgkmcnt(6)
	v_fmac_f16_e32 v44, v58, v54
	v_fmac_f16_e32 v51, v57, v50
	v_fma_f16 v16, v56, v48, -v16
	v_fma_f16 v14, v58, v47, -v14
	;; [unrolled: 1-line block ×4, first 2 shown]
	v_sub_f16_e32 v44, v8, v44
	s_waitcnt lgkmcnt(5)
	v_sub_f16_e32 v7, v59, v7
	v_sub_f16_e32 v45, v9, v51
	s_waitcnt lgkmcnt(3)
	v_sub_f16_e32 v17, v40, v17
	s_waitcnt lgkmcnt(2)
	;; [unrolled: 2-line block ×4, first 2 shown]
	v_sub_f16_e32 v14, v4, v14
	v_sub_f16_e32 v43, v10, v43
	;; [unrolled: 1-line block ×5, first 2 shown]
	v_fma_f16 v8, v8, 2.0, -v44
	v_fma_f16 v4, v4, 2.0, -v14
	;; [unrolled: 1-line block ×5, first 2 shown]
	v_pack_b32_f16 v7, v39, v7
	v_fma_f16 v39, v40, 2.0, -v17
	v_fma_f16 v40, v42, 2.0, -v16
	;; [unrolled: 1-line block ×7, first 2 shown]
	v_pack_b32_f16 v4, v8, v4
	v_pack_b32_f16 v14, v44, v14
	;; [unrolled: 1-line block ×11, first 2 shown]
	global_store_dword v[20:21], v4, off
	global_store_dword v[24:25], v14, off
	;; [unrolled: 1-line block ×12, first 2 shown]
.LBB0_17:
	s_endpgm
	.section	.rodata,"a",@progbits
	.p2align	6, 0x0
	.amdhsa_kernel fft_rtc_back_len1872_factors_13_3_4_6_2_wgs_156_tpt_156_halfLds_half_ip_CI_sbrr_dirReg
		.amdhsa_group_segment_fixed_size 0
		.amdhsa_private_segment_fixed_size 0
		.amdhsa_kernarg_size 88
		.amdhsa_user_sgpr_count 6
		.amdhsa_user_sgpr_private_segment_buffer 1
		.amdhsa_user_sgpr_dispatch_ptr 0
		.amdhsa_user_sgpr_queue_ptr 0
		.amdhsa_user_sgpr_kernarg_segment_ptr 1
		.amdhsa_user_sgpr_dispatch_id 0
		.amdhsa_user_sgpr_flat_scratch_init 0
		.amdhsa_user_sgpr_private_segment_size 0
		.amdhsa_wavefront_size32 1
		.amdhsa_uses_dynamic_stack 0
		.amdhsa_system_sgpr_private_segment_wavefront_offset 0
		.amdhsa_system_sgpr_workgroup_id_x 1
		.amdhsa_system_sgpr_workgroup_id_y 0
		.amdhsa_system_sgpr_workgroup_id_z 0
		.amdhsa_system_sgpr_workgroup_info 0
		.amdhsa_system_vgpr_workitem_id 0
		.amdhsa_next_free_vgpr 61
		.amdhsa_next_free_sgpr 23
		.amdhsa_reserve_vcc 1
		.amdhsa_reserve_flat_scratch 0
		.amdhsa_float_round_mode_32 0
		.amdhsa_float_round_mode_16_64 0
		.amdhsa_float_denorm_mode_32 3
		.amdhsa_float_denorm_mode_16_64 3
		.amdhsa_dx10_clamp 1
		.amdhsa_ieee_mode 1
		.amdhsa_fp16_overflow 0
		.amdhsa_workgroup_processor_mode 1
		.amdhsa_memory_ordered 1
		.amdhsa_forward_progress 0
		.amdhsa_shared_vgpr_count 0
		.amdhsa_exception_fp_ieee_invalid_op 0
		.amdhsa_exception_fp_denorm_src 0
		.amdhsa_exception_fp_ieee_div_zero 0
		.amdhsa_exception_fp_ieee_overflow 0
		.amdhsa_exception_fp_ieee_underflow 0
		.amdhsa_exception_fp_ieee_inexact 0
		.amdhsa_exception_int_div_zero 0
	.end_amdhsa_kernel
	.text
.Lfunc_end0:
	.size	fft_rtc_back_len1872_factors_13_3_4_6_2_wgs_156_tpt_156_halfLds_half_ip_CI_sbrr_dirReg, .Lfunc_end0-fft_rtc_back_len1872_factors_13_3_4_6_2_wgs_156_tpt_156_halfLds_half_ip_CI_sbrr_dirReg
                                        ; -- End function
	.section	.AMDGPU.csdata,"",@progbits
; Kernel info:
; codeLenInByte = 9904
; NumSgprs: 25
; NumVgprs: 61
; ScratchSize: 0
; MemoryBound: 0
; FloatMode: 240
; IeeeMode: 1
; LDSByteSize: 0 bytes/workgroup (compile time only)
; SGPRBlocks: 3
; VGPRBlocks: 7
; NumSGPRsForWavesPerEU: 25
; NumVGPRsForWavesPerEU: 61
; Occupancy: 15
; WaveLimiterHint : 1
; COMPUTE_PGM_RSRC2:SCRATCH_EN: 0
; COMPUTE_PGM_RSRC2:USER_SGPR: 6
; COMPUTE_PGM_RSRC2:TRAP_HANDLER: 0
; COMPUTE_PGM_RSRC2:TGID_X_EN: 1
; COMPUTE_PGM_RSRC2:TGID_Y_EN: 0
; COMPUTE_PGM_RSRC2:TGID_Z_EN: 0
; COMPUTE_PGM_RSRC2:TIDIG_COMP_CNT: 0
	.text
	.p2alignl 6, 3214868480
	.fill 48, 4, 3214868480
	.type	__hip_cuid_74a5046dae4fa8f0,@object ; @__hip_cuid_74a5046dae4fa8f0
	.section	.bss,"aw",@nobits
	.globl	__hip_cuid_74a5046dae4fa8f0
__hip_cuid_74a5046dae4fa8f0:
	.byte	0                               ; 0x0
	.size	__hip_cuid_74a5046dae4fa8f0, 1

	.ident	"AMD clang version 19.0.0git (https://github.com/RadeonOpenCompute/llvm-project roc-6.4.0 25133 c7fe45cf4b819c5991fe208aaa96edf142730f1d)"
	.section	".note.GNU-stack","",@progbits
	.addrsig
	.addrsig_sym __hip_cuid_74a5046dae4fa8f0
	.amdgpu_metadata
---
amdhsa.kernels:
  - .args:
      - .actual_access:  read_only
        .address_space:  global
        .offset:         0
        .size:           8
        .value_kind:     global_buffer
      - .offset:         8
        .size:           8
        .value_kind:     by_value
      - .actual_access:  read_only
        .address_space:  global
        .offset:         16
        .size:           8
        .value_kind:     global_buffer
      - .actual_access:  read_only
        .address_space:  global
        .offset:         24
        .size:           8
        .value_kind:     global_buffer
      - .offset:         32
        .size:           8
        .value_kind:     by_value
      - .actual_access:  read_only
        .address_space:  global
        .offset:         40
        .size:           8
        .value_kind:     global_buffer
      - .actual_access:  read_only
        .address_space:  global
        .offset:         48
        .size:           8
        .value_kind:     global_buffer
      - .offset:         56
        .size:           4
        .value_kind:     by_value
      - .actual_access:  read_only
        .address_space:  global
        .offset:         64
        .size:           8
        .value_kind:     global_buffer
      - .actual_access:  read_only
        .address_space:  global
        .offset:         72
        .size:           8
        .value_kind:     global_buffer
      - .address_space:  global
        .offset:         80
        .size:           8
        .value_kind:     global_buffer
    .group_segment_fixed_size: 0
    .kernarg_segment_align: 8
    .kernarg_segment_size: 88
    .language:       OpenCL C
    .language_version:
      - 2
      - 0
    .max_flat_workgroup_size: 156
    .name:           fft_rtc_back_len1872_factors_13_3_4_6_2_wgs_156_tpt_156_halfLds_half_ip_CI_sbrr_dirReg
    .private_segment_fixed_size: 0
    .sgpr_count:     25
    .sgpr_spill_count: 0
    .symbol:         fft_rtc_back_len1872_factors_13_3_4_6_2_wgs_156_tpt_156_halfLds_half_ip_CI_sbrr_dirReg.kd
    .uniform_work_group_size: 1
    .uses_dynamic_stack: false
    .vgpr_count:     61
    .vgpr_spill_count: 0
    .wavefront_size: 32
    .workgroup_processor_mode: 1
amdhsa.target:   amdgcn-amd-amdhsa--gfx1030
amdhsa.version:
  - 1
  - 2
...

	.end_amdgpu_metadata
